;; amdgpu-corpus repo=ROCm/rocFFT kind=compiled arch=gfx906 opt=O3
	.text
	.amdgcn_target "amdgcn-amd-amdhsa--gfx906"
	.amdhsa_code_object_version 6
	.protected	bluestein_single_back_len84_dim1_dp_op_CI_CI ; -- Begin function bluestein_single_back_len84_dim1_dp_op_CI_CI
	.globl	bluestein_single_back_len84_dim1_dp_op_CI_CI
	.p2align	8
	.type	bluestein_single_back_len84_dim1_dp_op_CI_CI,@function
bluestein_single_back_len84_dim1_dp_op_CI_CI: ; @bluestein_single_back_len84_dim1_dp_op_CI_CI
; %bb.0:
	v_mul_u32_u24_e32 v1, 0x1556, v0
	s_load_dwordx4 s[16:19], s[4:5], 0x28
	v_lshrrev_b32_e32 v1, 16, v1
	v_mad_u64_u32 v[132:133], s[0:1], s6, 10, v[1:2]
	v_mov_b32_e32 v133, 0
	s_waitcnt lgkmcnt(0)
	v_cmp_gt_u64_e32 vcc, s[16:17], v[132:133]
	s_and_saveexec_b64 s[0:1], vcc
	s_cbranch_execz .LBB0_18
; %bb.1:
	s_load_dwordx4 s[0:3], s[4:5], 0x18
	s_load_dwordx4 s[12:15], s[4:5], 0x0
	v_mul_lo_u16_e32 v1, 12, v1
	v_sub_u16_e32 v136, v0, v1
	v_or_b32_e32 v135, 48, v136
	s_waitcnt lgkmcnt(0)
	s_load_dwordx4 s[8:11], s[0:1], 0x0
	v_lshlrev_b32_e32 v76, 4, v136
	s_load_dwordx2 s[4:5], s[4:5], 0x38
	s_waitcnt lgkmcnt(0)
	v_mad_u64_u32 v[0:1], s[0:1], s10, v132, 0
	v_mad_u64_u32 v[2:3], s[0:1], s8, v136, 0
	;; [unrolled: 1-line block ×4, first 2 shown]
	v_mov_b32_e32 v1, v4
	v_lshlrev_b64 v[0:1], 4, v[0:1]
	v_mov_b32_e32 v6, s19
	v_mov_b32_e32 v3, v5
	v_add_co_u32_e32 v7, vcc, s18, v0
	v_addc_co_u32_e32 v6, vcc, v6, v1, vcc
	v_lshlrev_b64 v[0:1], 4, v[2:3]
	s_mul_i32 s0, s9, 0xc0
	v_add_co_u32_e32 v0, vcc, v7, v0
	s_mul_hi_u32 s1, s8, 0xc0
	v_addc_co_u32_e32 v1, vcc, v6, v1, vcc
	s_add_i32 s0, s1, s0
	s_mul_i32 s1, s8, 0xc0
	v_mad_u64_u32 v[4:5], s[6:7], s8, v135, 0
	global_load_dwordx4 v[28:31], v[0:1], off
	v_mov_b32_e32 v2, s0
	v_add_co_u32_e32 v0, vcc, s1, v0
	v_addc_co_u32_e32 v1, vcc, v1, v2, vcc
	v_mov_b32_e32 v3, s0
	v_add_co_u32_e32 v2, vcc, s1, v0
	global_load_dwordx4 v[24:27], v76, s[12:13]
	global_load_dwordx4 v[8:11], v76, s[12:13] offset:192
	v_addc_co_u32_e32 v3, vcc, v1, v3, vcc
	global_load_dwordx4 v[32:35], v[0:1], off
	global_load_dwordx4 v[36:39], v[2:3], off
	v_mov_b32_e32 v0, v5
	v_mad_u64_u32 v[0:1], s[6:7], s9, v135, v[0:1]
	v_mov_b32_e32 v12, s0
	v_add_co_u32_e32 v1, vcc, s1, v2
	v_mov_b32_e32 v5, v0
	v_addc_co_u32_e32 v2, vcc, v3, v12, vcc
	v_lshlrev_b64 v[3:4], 4, v[4:5]
	v_mov_b32_e32 v0, 0x180
	v_add_co_u32_e32 v3, vcc, v7, v3
	v_addc_co_u32_e32 v4, vcc, v6, v4, vcc
	v_mad_u64_u32 v[5:6], s[6:7], s8, v0, v[1:2]
	global_load_dwordx4 v[20:23], v76, s[12:13] offset:384
	global_load_dwordx4 v[12:15], v76, s[12:13] offset:576
	s_mul_i32 s6, s9, 0x180
	global_load_dwordx4 v[40:43], v[1:2], off
	global_load_dwordx4 v[44:47], v[3:4], off
	v_add_u32_e32 v6, s6, v6
	global_load_dwordx4 v[48:51], v[5:6], off
	global_load_dwordx4 v[16:19], v76, s[12:13] offset:768
	global_load_dwordx4 v[0:3], v76, s[12:13] offset:960
	v_mov_b32_e32 v4, s0
	v_add_co_u32_e32 v56, vcc, s1, v5
	v_addc_co_u32_e32 v57, vcc, v6, v4, vcc
	global_load_dwordx4 v[4:7], v76, s[12:13] offset:1152
	global_load_dwordx4 v[52:55], v[56:57], off
	s_mov_b32 s0, 0xcccccccd
	v_mul_hi_u32 v56, v132, s0
	s_load_dwordx4 s[8:11], s[2:3], 0x0
	s_mov_b32 s0, 0x37e14327
	s_mov_b32 s1, 0x3fe948f6
	v_lshrrev_b32_e32 v56, 3, v56
	v_mul_lo_u32 v56, v56, 10
	s_mov_b32 s2, 0xe976ee23
	s_mov_b32 s3, 0xbfe11646
	;; [unrolled: 1-line block ×3, first 2 shown]
	v_sub_u32_e32 v56, v132, v56
	v_mul_u32_u24_e32 v56, 0x54, v56
	v_lshlrev_b32_e32 v138, 4, v56
	v_add_u32_e32 v137, v76, v138
	s_mov_b32 s7, 0xbff2aaaa
	s_waitcnt vmcnt(12)
	v_mul_f64 v[56:57], v[30:31], v[26:27]
	v_mul_f64 v[58:59], v[28:29], v[26:27]
	s_waitcnt vmcnt(10)
	v_mul_f64 v[60:61], v[34:35], v[10:11]
	v_mul_f64 v[62:63], v[32:33], v[10:11]
	v_fma_f64 v[28:29], v[28:29], v[24:25], v[56:57]
	v_fma_f64 v[30:31], v[30:31], v[24:25], -v[58:59]
	v_fma_f64 v[32:33], v[32:33], v[8:9], v[60:61]
	v_fma_f64 v[34:35], v[34:35], v[8:9], -v[62:63]
	s_waitcnt vmcnt(8)
	v_mul_f64 v[64:65], v[38:39], v[22:23]
	v_mul_f64 v[66:67], v[36:37], v[22:23]
	s_waitcnt vmcnt(6)
	v_mul_f64 v[68:69], v[42:43], v[14:15]
	v_mul_f64 v[70:71], v[40:41], v[14:15]
	;; [unrolled: 3-line block ×4, first 2 shown]
	v_fma_f64 v[36:37], v[36:37], v[20:21], v[64:65]
	v_fma_f64 v[38:39], v[38:39], v[20:21], -v[66:67]
	v_fma_f64 v[40:41], v[40:41], v[12:13], v[68:69]
	s_waitcnt vmcnt(0)
	v_mul_f64 v[60:61], v[54:55], v[6:7]
	v_mul_f64 v[62:63], v[52:53], v[6:7]
	v_fma_f64 v[42:43], v[42:43], v[12:13], -v[70:71]
	v_fma_f64 v[44:45], v[44:45], v[16:17], v[72:73]
	v_fma_f64 v[46:47], v[46:47], v[16:17], -v[74:75]
	v_fma_f64 v[48:49], v[48:49], v[0:1], v[56:57]
	v_fma_f64 v[50:51], v[50:51], v[0:1], -v[58:59]
                                        ; implicit-def: $vgpr72_vgpr73
	v_fma_f64 v[52:53], v[52:53], v[4:5], v[60:61]
	v_fma_f64 v[54:55], v[54:55], v[4:5], -v[62:63]
	ds_write_b128 v137, v[28:31]
	ds_write_b128 v137, v[32:35] offset:192
	ds_write_b128 v137, v[36:39] offset:384
	;; [unrolled: 1-line block ×6, first 2 shown]
	s_waitcnt lgkmcnt(0)
	s_barrier
	ds_read_b128 v[28:31], v137
	ds_read_b128 v[32:35], v137 offset:192
	ds_read_b128 v[36:39], v137 offset:1152
	;; [unrolled: 1-line block ×6, first 2 shown]
	s_waitcnt lgkmcnt(4)
	v_add_f64 v[56:57], v[32:33], v[36:37]
	v_add_f64 v[58:59], v[34:35], v[38:39]
	v_add_f64 v[32:33], v[32:33], -v[36:37]
	v_add_f64 v[34:35], v[34:35], -v[38:39]
	s_waitcnt lgkmcnt(0)
	v_add_f64 v[36:37], v[40:41], v[52:53]
	v_add_f64 v[38:39], v[42:43], v[54:55]
	v_add_f64 v[40:41], v[40:41], -v[52:53]
	v_add_f64 v[42:43], v[42:43], -v[54:55]
	v_add_f64 v[52:53], v[44:45], v[48:49]
	v_add_f64 v[54:55], v[46:47], v[50:51]
	v_add_f64 v[44:45], v[48:49], -v[44:45]
	v_add_f64 v[46:47], v[50:51], -v[46:47]
	;; [unrolled: 4-line block ×3, first 2 shown]
	v_add_f64 v[56:57], v[56:57], -v[52:53]
	v_add_f64 v[58:59], v[58:59], -v[54:55]
	v_add_f64 v[64:65], v[44:45], v[40:41]
	v_add_f64 v[66:67], v[46:47], v[42:43]
	v_add_f64 v[48:49], v[52:53], v[48:49]
	v_add_f64 v[50:51], v[54:55], v[50:51]
	v_add_f64 v[36:37], v[52:53], -v[36:37]
	v_add_f64 v[38:39], v[54:55], -v[38:39]
	v_add_f64 v[68:69], v[44:45], -v[40:41]
	v_add_f64 v[70:71], v[46:47], -v[42:43]
	v_add_f64 v[40:41], v[40:41], -v[32:33]
	v_add_f64 v[42:43], v[42:43], -v[34:35]
	v_add_f64 v[44:45], v[32:33], -v[44:45]
	v_add_f64 v[46:47], v[34:35], -v[46:47]
	v_add_f64 v[52:53], v[64:65], v[32:33]
	v_add_f64 v[54:55], v[66:67], v[34:35]
	;; [unrolled: 1-line block ×4, first 2 shown]
	v_mul_f64 v[28:29], v[56:57], s[0:1]
	v_mul_f64 v[30:31], v[58:59], s[0:1]
	s_mov_b32 s0, 0x36b3c0b5
	s_mov_b32 s1, 0x3fac98ee
	v_mul_f64 v[56:57], v[36:37], s[0:1]
	v_mul_f64 v[58:59], v[38:39], s[0:1]
	;; [unrolled: 1-line block ×4, first 2 shown]
	s_mov_b32 s2, 0x429ad128
	s_mov_b32 s3, 0x3febfeb5
	v_mul_f64 v[68:69], v[40:41], s[2:3]
	v_mul_f64 v[70:71], v[42:43], s[2:3]
	v_fma_f64 v[36:37], v[36:37], s[0:1], v[28:29]
	v_fma_f64 v[38:39], v[38:39], s[0:1], v[30:31]
	s_mov_b32 s1, 0x3fe77f67
	s_mov_b32 s0, 0x5476071b
	v_fma_f64 v[56:57], v[60:61], s[0:1], -v[56:57]
	v_fma_f64 v[58:59], v[62:63], s[0:1], -v[58:59]
	s_mov_b32 s1, 0xbfe77f67
	v_fma_f64 v[28:29], v[60:61], s[0:1], -v[28:29]
	v_fma_f64 v[30:31], v[62:63], s[0:1], -v[30:31]
	s_mov_b32 s1, 0x3fd5d0dc
	s_mov_b32 s0, 0xb247c609
	v_fma_f64 v[48:49], v[48:49], s[6:7], v[32:33]
	v_fma_f64 v[50:51], v[50:51], s[6:7], v[34:35]
	;; [unrolled: 1-line block ×4, first 2 shown]
	s_mov_b32 s1, 0xbfd5d0dc
	v_fma_f64 v[44:45], v[44:45], s[0:1], -v[68:69]
	v_fma_f64 v[46:47], v[46:47], s[0:1], -v[70:71]
	;; [unrolled: 1-line block ×4, first 2 shown]
	s_mov_b32 s0, 0x37c3f68c
	s_mov_b32 s1, 0x3fdc38aa
	v_add_f64 v[64:65], v[36:37], v[48:49]
	v_add_f64 v[66:67], v[38:39], v[50:51]
	v_fma_f64 v[62:63], v[54:55], s[0:1], v[62:63]
	v_fma_f64 v[60:61], v[52:53], s[0:1], v[60:61]
	v_add_f64 v[28:29], v[28:29], v[48:49]
	v_add_f64 v[30:31], v[30:31], v[50:51]
	v_fma_f64 v[68:69], v[54:55], s[0:1], v[46:47]
	v_fma_f64 v[70:71], v[52:53], s[0:1], v[44:45]
	v_add_f64 v[56:57], v[56:57], v[48:49]
	v_add_f64 v[58:59], v[58:59], v[50:51]
	v_fma_f64 v[48:49], v[54:55], s[0:1], v[42:43]
	v_fma_f64 v[50:51], v[52:53], s[0:1], v[40:41]
	v_add_f64 v[36:37], v[64:65], v[62:63]
	v_add_f64 v[38:39], v[66:67], -v[60:61]
	v_add_f64 v[40:41], v[28:29], v[68:69]
	v_add_f64 v[42:43], v[30:31], -v[70:71]
	v_add_f64 v[52:53], v[28:29], -v[68:69]
	v_add_f64 v[54:55], v[70:71], v[30:31]
	v_add_f64 v[44:45], v[56:57], -v[48:49]
	v_add_f64 v[46:47], v[50:51], v[58:59]
	v_add_f64 v[48:49], v[56:57], v[48:49]
	v_add_f64 v[50:51], v[58:59], -v[50:51]
	v_add_f64 v[28:29], v[64:65], -v[62:63]
	v_add_f64 v[30:31], v[60:61], v[66:67]
	v_mul_lo_u16_e32 v56, 7, v136
	v_lshl_add_u32 v139, v56, 4, v138
	s_barrier
	ds_write_b128 v139, v[32:35]
	ds_write_b128 v139, v[36:39] offset:16
	ds_write_b128 v139, v[40:43] offset:32
	;; [unrolled: 1-line block ×6, first 2 shown]
	s_waitcnt lgkmcnt(0)
	s_barrier
	ds_read_b128 v[32:35], v137
	ds_read_b128 v[36:39], v137 offset:192
	ds_read_b128 v[52:55], v137 offset:672
	;; [unrolled: 1-line block ×5, first 2 shown]
	v_cmp_gt_u16_e64 s[0:1], 6, v136
	s_and_saveexec_b64 s[2:3], s[0:1]
	s_cbranch_execz .LBB0_3
; %bb.2:
	ds_read_b128 v[28:31], v137 offset:576
	ds_read_b128 v[72:75], v137 offset:1248
.LBB0_3:
	s_or_b64 exec, exec, s[2:3]
	v_add_co_u32_e32 v77, vcc, 12, v136
	v_add_co_u32_e32 v40, vcc, -7, v136
	v_addc_co_u32_e64 v41, s[2:3], 0, -1, vcc
	v_cmp_gt_u16_e32 vcc, 7, v136
	v_cndmask_b32_e64 v81, v41, 0, vcc
	v_cndmask_b32_e32 v80, v40, v136, vcc
	v_lshlrev_b64 v[40:41], 4, v[80:81]
	v_mov_b32_e32 v58, 37
	v_mov_b32_e32 v42, s15
	v_add_co_u32_e32 v56, vcc, s14, v40
	v_mul_lo_u16_sdwa v40, v77, v58 dst_sel:DWORD dst_unused:UNUSED_PAD src0_sel:BYTE_0 src1_sel:DWORD
	v_addc_co_u32_e32 v57, vcc, v42, v41, vcc
	v_sub_u16_sdwa v41, v77, v40 dst_sel:DWORD dst_unused:UNUSED_PAD src0_sel:DWORD src1_sel:BYTE_1
	v_lshrrev_b16_e32 v41, 1, v41
	v_and_b32_e32 v41, 0x7f, v41
	v_add_u16_sdwa v40, v41, v40 dst_sel:DWORD dst_unused:UNUSED_PAD src0_sel:DWORD src1_sel:BYTE_1
	v_lshrrev_b16_e32 v81, 2, v40
	v_mul_lo_u16_e32 v40, 7, v81
	v_sub_u16_e32 v82, v77, v40
	v_mov_b32_e32 v59, 4
	v_lshlrev_b32_sdwa v60, v59, v82 dst_sel:DWORD dst_unused:UNUSED_PAD src0_sel:DWORD src1_sel:BYTE_0
	global_load_dwordx4 v[44:47], v[56:57], off
	global_load_dwordx4 v[40:43], v60, s[14:15]
	v_add_u16_e32 v56, 24, v136
	v_mul_lo_u16_sdwa v57, v56, v58 dst_sel:DWORD dst_unused:UNUSED_PAD src0_sel:BYTE_0 src1_sel:DWORD
	v_sub_u16_sdwa v60, v56, v57 dst_sel:DWORD dst_unused:UNUSED_PAD src0_sel:DWORD src1_sel:BYTE_1
	v_lshrrev_b16_e32 v60, 1, v60
	v_and_b32_e32 v60, 0x7f, v60
	v_add_u16_sdwa v57, v60, v57 dst_sel:DWORD dst_unused:UNUSED_PAD src0_sel:DWORD src1_sel:BYTE_1
	v_lshrrev_b16_e32 v83, 2, v57
	v_mul_lo_u16_e32 v57, 7, v83
	v_sub_u16_e32 v84, v56, v57
	v_add_u16_e32 v57, 36, v136
	v_mul_lo_u16_sdwa v58, v57, v58 dst_sel:DWORD dst_unused:UNUSED_PAD src0_sel:BYTE_0 src1_sel:DWORD
	v_lshlrev_b32_sdwa v56, v59, v84 dst_sel:DWORD dst_unused:UNUSED_PAD src0_sel:DWORD src1_sel:BYTE_0
	v_sub_u16_sdwa v59, v57, v58 dst_sel:DWORD dst_unused:UNUSED_PAD src0_sel:DWORD src1_sel:BYTE_1
	v_lshrrev_b16_e32 v59, 1, v59
	v_and_b32_e32 v59, 0x7f, v59
	v_add_u16_sdwa v58, v59, v58 dst_sel:DWORD dst_unused:UNUSED_PAD src0_sel:DWORD src1_sel:BYTE_1
	v_lshrrev_b16_e32 v58, 2, v58
	v_mul_lo_u16_e32 v58, 7, v58
	v_sub_u16_e32 v140, v57, v58
	v_and_b32_e32 v79, 0xff, v140
	v_lshlrev_b32_e32 v60, 4, v79
	global_load_dwordx4 v[56:59], v56, s[14:15]
	v_cmp_lt_u16_e32 vcc, 6, v136
	global_load_dwordx4 v[60:63], v60, s[14:15]
	v_cndmask_b32_e64 v85, 0, 14, vcc
	v_add_u32_e32 v80, v80, v85
	v_lshl_add_u32 v142, v80, 4, v138
	v_mad_legacy_u16 v80, v81, 14, v82
	v_mad_legacy_u16 v81, v83, 14, v84
	v_and_b32_e32 v80, 0xff, v80
	v_and_b32_e32 v96, 0xff, v81
	v_lshl_add_u32 v143, v80, 4, v138
	v_mov_b32_e32 v78, s13
	v_lshl_add_u32 v144, v96, 4, v138
	s_waitcnt vmcnt(0) lgkmcnt(0)
	s_barrier
	v_mul_f64 v[80:81], v[54:55], v[46:47]
	v_mul_f64 v[82:83], v[52:53], v[46:47]
	;; [unrolled: 1-line block ×4, first 2 shown]
	v_fma_f64 v[52:53], v[52:53], v[44:45], -v[80:81]
	v_fma_f64 v[54:55], v[54:55], v[44:45], v[82:83]
	v_fma_f64 v[68:69], v[68:69], v[40:41], -v[84:85]
	v_fma_f64 v[70:71], v[70:71], v[40:41], v[86:87]
	v_add_f64 v[52:53], v[32:33], -v[52:53]
	v_add_f64 v[54:55], v[34:35], -v[54:55]
	v_mul_f64 v[88:89], v[66:67], v[58:59]
	v_mul_f64 v[90:91], v[64:65], v[58:59]
	;; [unrolled: 1-line block ×4, first 2 shown]
	v_fma_f64 v[32:33], v[32:33], 2.0, -v[52:53]
	v_fma_f64 v[34:35], v[34:35], 2.0, -v[54:55]
	v_fma_f64 v[80:81], v[64:65], v[56:57], -v[88:89]
	v_fma_f64 v[82:83], v[66:67], v[56:57], v[90:91]
	v_fma_f64 v[72:73], v[72:73], v[60:61], -v[92:93]
	v_fma_f64 v[74:75], v[74:75], v[60:61], v[94:95]
	v_add_f64 v[64:65], v[36:37], -v[68:69]
	v_add_f64 v[66:67], v[38:39], -v[70:71]
	;; [unrolled: 1-line block ×6, first 2 shown]
	v_fma_f64 v[36:37], v[36:37], 2.0, -v[64:65]
	v_fma_f64 v[38:39], v[38:39], 2.0, -v[66:67]
	;; [unrolled: 1-line block ×6, first 2 shown]
	ds_write_b128 v142, v[52:55] offset:112
	ds_write_b128 v142, v[32:35]
	ds_write_b128 v143, v[64:67] offset:112
	ds_write_b128 v143, v[36:39]
	ds_write_b128 v144, v[48:51]
	ds_write_b128 v144, v[68:71] offset:112
	s_and_saveexec_b64 s[2:3], s[0:1]
	s_cbranch_execz .LBB0_5
; %bb.4:
	v_lshl_add_u32 v28, v79, 4, v138
	ds_write_b128 v28, v[84:87] offset:1120
	ds_write_b128 v28, v[92:95] offset:1232
.LBB0_5:
	s_or_b64 exec, exec, s[2:3]
	s_waitcnt lgkmcnt(0)
	s_barrier
	ds_read_b128 v[88:91], v137
	ds_read_b128 v[112:115], v137 offset:224
	ds_read_b128 v[108:111], v137 offset:448
	;; [unrolled: 1-line block ×5, first 2 shown]
	v_add_co_u32_e32 v133, vcc, s12, v76
	v_addc_co_u32_e32 v134, vcc, 0, v78, vcc
	v_cmp_gt_u16_e32 vcc, 2, v136
                                        ; implicit-def: $vgpr116_vgpr117
                                        ; implicit-def: $vgpr120_vgpr121
                                        ; implicit-def: $vgpr124_vgpr125
                                        ; implicit-def: $vgpr128_vgpr129
	s_and_saveexec_b64 s[2:3], vcc
	s_cbranch_execz .LBB0_7
; %bb.6:
	ds_read_b128 v[84:87], v137 offset:192
	ds_read_b128 v[92:95], v137 offset:416
	;; [unrolled: 1-line block ×6, first 2 shown]
.LBB0_7:
	s_or_b64 exec, exec, s[2:3]
	v_add_u32_e32 v28, -2, v136
	v_cndmask_b32_e32 v28, v28, v77, vcc
	v_mul_hi_i32_i24_e32 v29, 0x50, v28
	v_mul_i32_i24_e32 v28, 0x50, v28
	v_mov_b32_e32 v33, s15
	s_movk_i32 s6, 0x50
	v_mov_b32_e32 v30, s15
	v_add_co_u32_e64 v52, s[2:3], s14, v28
	v_mov_b32_e32 v32, s14
	v_addc_co_u32_e64 v53, s[2:3], v30, v29, s[2:3]
	v_mad_u64_u32 v[54:55], s[2:3], v136, s6, v[32:33]
	global_load_dwordx4 v[28:31], v[52:53], off offset:144
	global_load_dwordx4 v[36:39], v[52:53], off offset:128
	;; [unrolled: 1-line block ×9, first 2 shown]
	s_nop 0
	global_load_dwordx4 v[52:55], v[52:53], off offset:112
	s_mov_b32 s2, 0xe8584caa
	s_mov_b32 s3, 0x3febb67a
	;; [unrolled: 1-line block ×4, first 2 shown]
	v_lshl_add_u32 v141, v136, 4, v138
	s_waitcnt vmcnt(7) lgkmcnt(1)
	v_mul_f64 v[153:154], v[126:127], v[34:35]
	v_mul_f64 v[155:156], v[124:125], v[34:35]
	s_waitcnt vmcnt(5)
	v_mul_f64 v[161:162], v[114:115], v[66:67]
	s_waitcnt vmcnt(4)
	;; [unrolled: 2-line block ×4, first 2 shown]
	v_mul_f64 v[175:176], v[100:101], v[78:79]
	s_waitcnt vmcnt(1) lgkmcnt(0)
	v_mul_f64 v[177:178], v[98:99], v[74:75]
	v_mul_f64 v[145:146], v[118:119], v[38:39]
	;; [unrolled: 1-line block ×7, first 2 shown]
	v_fma_f64 v[110:111], v[110:111], v[80:81], v[167:168]
	v_fma_f64 v[104:105], v[104:105], v[68:69], -v[169:170]
	v_fma_f64 v[102:103], v[102:103], v[76:77], v[175:176]
	v_fma_f64 v[96:97], v[96:97], v[72:73], -v[177:178]
	v_mul_f64 v[147:148], v[116:117], v[38:39]
	v_mul_f64 v[149:150], v[122:123], v[30:31]
	;; [unrolled: 1-line block ×5, first 2 shown]
	v_fma_f64 v[116:117], v[116:117], v[36:37], -v[145:146]
	v_fma_f64 v[112:113], v[112:113], v[64:65], -v[161:162]
	v_fma_f64 v[114:115], v[114:115], v[64:65], v[163:164]
	v_fma_f64 v[108:109], v[108:109], v[80:81], -v[165:166]
	v_fma_f64 v[106:107], v[106:107], v[68:69], v[171:172]
	v_fma_f64 v[98:99], v[98:99], v[72:73], v[179:180]
	v_add_f64 v[165:166], v[110:111], -v[102:103]
	v_add_f64 v[167:168], v[90:91], v[110:111]
	v_add_f64 v[110:111], v[110:111], v[102:103]
	;; [unrolled: 1-line block ×3, first 2 shown]
	s_waitcnt vmcnt(0)
	v_mul_f64 v[181:182], v[94:95], v[54:55]
	v_mul_f64 v[183:184], v[92:93], v[54:55]
	v_fma_f64 v[118:119], v[118:119], v[36:37], v[147:148]
	v_fma_f64 v[120:121], v[120:121], v[28:29], -v[149:150]
	v_fma_f64 v[147:148], v[122:123], v[28:29], v[151:152]
	v_fma_f64 v[122:123], v[124:125], v[32:33], -v[153:154]
	;; [unrolled: 2-line block ×4, first 2 shown]
	v_add_f64 v[124:125], v[84:85], v[116:117]
	v_add_f64 v[173:174], v[106:107], -v[98:99]
	v_add_f64 v[175:176], v[114:115], v[106:107]
	v_add_f64 v[106:107], v[106:107], v[98:99]
	v_fma_f64 v[90:91], v[110:111], -0.5, v[90:91]
	v_fma_f64 v[110:111], v[171:172], -0.5, v[112:113]
	v_fma_f64 v[92:93], v[92:93], v[52:53], -v[181:182]
	v_fma_f64 v[94:95], v[94:95], v[52:53], v[183:184]
	v_add_f64 v[126:127], v[116:117], v[122:123]
	v_add_f64 v[128:129], v[118:119], -v[149:150]
	v_add_f64 v[155:156], v[86:87], v[118:119]
	v_add_f64 v[118:119], v[118:119], v[149:150]
	v_add_f64 v[116:117], v[116:117], -v[122:123]
	v_add_f64 v[130:131], v[120:121], v[151:152]
	v_add_f64 v[157:158], v[147:148], v[153:154]
	v_add_f64 v[163:164], v[108:109], v[100:101]
	v_add_f64 v[169:170], v[112:113], v[104:105]
	v_add_f64 v[177:178], v[104:105], -v[96:97]
	v_add_f64 v[104:105], v[124:125], v[122:123]
	v_fma_f64 v[106:107], v[106:107], -0.5, v[114:115]
	v_fma_f64 v[122:123], v[173:174], s[6:7], v[110:111]
	v_add_f64 v[145:146], v[147:148], -v[153:154]
	v_add_f64 v[159:160], v[120:121], -v[151:152]
	v_add_f64 v[161:162], v[88:89], v[108:109]
	v_add_f64 v[108:109], v[108:109], -v[100:101]
	v_add_f64 v[179:180], v[92:93], v[120:121]
	v_fma_f64 v[84:85], v[126:127], -0.5, v[84:85]
	v_fma_f64 v[86:87], v[118:119], -0.5, v[86:87]
	;; [unrolled: 1-line block ×5, first 2 shown]
	v_add_f64 v[102:103], v[167:168], v[102:103]
	v_add_f64 v[98:99], v[175:176], v[98:99]
	v_fma_f64 v[120:121], v[177:178], s[6:7], v[106:107]
	v_fma_f64 v[106:107], v[177:178], s[2:3], v[106:107]
	v_mul_f64 v[124:125], v[122:123], -0.5
	v_add_f64 v[100:101], v[161:162], v[100:101]
	v_add_f64 v[96:97], v[169:170], v[96:97]
	v_fma_f64 v[157:158], v[128:129], s[2:3], v[84:85]
	v_fma_f64 v[161:162], v[128:129], s[6:7], v[84:85]
	;; [unrolled: 1-line block ×13, first 2 shown]
	v_mul_f64 v[108:109], v[120:121], s[2:3]
	v_mul_f64 v[145:146], v[106:107], -0.5
	v_add_f64 v[114:115], v[102:103], v[98:99]
	v_add_f64 v[118:119], v[102:103], -v[98:99]
	v_fma_f64 v[98:99], v[106:107], s[2:3], v[124:125]
	v_mul_f64 v[126:127], v[110:111], s[6:7]
	v_add_f64 v[112:113], v[100:101], v[96:97]
	v_add_f64 v[116:117], v[100:101], -v[96:97]
	v_fma_f64 v[96:97], v[110:111], 0.5, v[108:109]
	v_fma_f64 v[102:103], v[122:123], s[6:7], v[145:146]
	v_mul_f64 v[106:107], v[92:93], s[2:3]
	v_mul_f64 v[108:109], v[86:87], -0.5
	v_mul_f64 v[110:111], v[84:85], s[6:7]
	v_mul_f64 v[165:166], v[159:160], -0.5
	v_add_f64 v[124:125], v[88:89], v[98:99]
	v_add_f64 v[145:146], v[88:89], -v[98:99]
	v_add_f64 v[88:89], v[94:95], v[147:148]
	v_fma_f64 v[100:101], v[120:121], 0.5, v[126:127]
	v_add_f64 v[120:121], v[128:129], v[96:97]
	v_add_f64 v[128:129], v[128:129], -v[96:97]
	v_fma_f64 v[94:95], v[84:85], 0.5, v[106:107]
	v_fma_f64 v[96:97], v[159:160], s[2:3], v[108:109]
	v_fma_f64 v[98:99], v[92:93], 0.5, v[110:111]
	v_fma_f64 v[159:160], v[86:87], s[6:7], v[165:166]
	v_add_f64 v[106:107], v[179:180], v[151:152]
	v_add_f64 v[108:109], v[155:156], v[149:150]
	;; [unrolled: 1-line block ×5, first 2 shown]
	v_add_f64 v[130:131], v[130:131], -v[100:101]
	v_add_f64 v[147:148], v[90:91], -v[102:103]
	v_add_f64 v[100:101], v[157:158], v[94:95]
	v_add_f64 v[84:85], v[161:162], v[96:97]
	v_add_f64 v[102:103], v[163:164], v[98:99]
	v_add_f64 v[86:87], v[167:168], v[159:160]
	v_add_f64 v[88:89], v[104:105], -v[106:107]
	v_add_f64 v[92:93], v[157:158], -v[94:95]
	;; [unrolled: 1-line block ×6, first 2 shown]
	ds_write_b128 v137, v[112:115]
	ds_write_b128 v141, v[120:123] offset:224
	ds_write_b128 v141, v[124:127] offset:448
	;; [unrolled: 1-line block ×5, first 2 shown]
	s_and_saveexec_b64 s[2:3], vcc
	s_cbranch_execz .LBB0_9
; %bb.8:
	v_add_f64 v[108:109], v[108:109], v[110:111]
	v_add_f64 v[106:107], v[104:105], v[106:107]
	ds_write_b128 v137, v[106:109] offset:192
	ds_write_b128 v141, v[100:103] offset:416
	ds_write_b128 v141, v[84:87] offset:640
	ds_write_b128 v141, v[88:91] offset:864
	ds_write_b128 v141, v[92:95] offset:1088
	ds_write_b128 v141, v[96:99] offset:1312
.LBB0_9:
	s_or_b64 exec, exec, s[2:3]
	s_waitcnt lgkmcnt(0)
	s_barrier
	global_load_dwordx4 v[104:107], v[133:134], off offset:1344
	s_add_u32 s2, s12, 0x540
	s_addc_u32 s3, s13, 0
	v_lshlrev_b32_e32 v128, 4, v136
	global_load_dwordx4 v[108:111], v128, s[2:3] offset:192
	global_load_dwordx4 v[112:115], v128, s[2:3] offset:384
	;; [unrolled: 1-line block ×5, first 2 shown]
	s_nop 0
	global_load_dwordx4 v[128:131], v128, s[2:3] offset:1152
	ds_read_b128 v[145:148], v137
	ds_read_b128 v[149:152], v137 offset:192
	ds_read_b128 v[153:156], v141 offset:576
	;; [unrolled: 1-line block ×6, first 2 shown]
	s_mov_b32 s6, 0x37e14327
	s_mov_b32 s2, 0x36b3c0b5
	;; [unrolled: 1-line block ×16, first 2 shown]
	s_waitcnt vmcnt(5) lgkmcnt(5)
	v_mul_f64 v[173:174], v[151:152], v[110:111]
	v_mul_f64 v[133:134], v[147:148], v[106:107]
	;; [unrolled: 1-line block ×4, first 2 shown]
	s_waitcnt vmcnt(4) lgkmcnt(3)
	v_mul_f64 v[175:176], v[159:160], v[114:115]
	v_mul_f64 v[114:115], v[157:158], v[114:115]
	s_waitcnt vmcnt(3)
	v_mul_f64 v[177:178], v[155:156], v[118:119]
	v_mul_f64 v[118:119], v[153:154], v[118:119]
	s_waitcnt vmcnt(2) lgkmcnt(2)
	v_mul_f64 v[179:180], v[163:164], v[122:123]
	v_mul_f64 v[122:123], v[161:162], v[122:123]
	s_waitcnt vmcnt(1) lgkmcnt(1)
	;; [unrolled: 3-line block ×3, first 2 shown]
	v_mul_f64 v[183:184], v[171:172], v[130:131]
	v_mul_f64 v[130:131], v[169:170], v[130:131]
	v_fma_f64 v[145:146], v[145:146], v[104:105], -v[133:134]
	v_fma_f64 v[147:148], v[147:148], v[104:105], v[106:107]
	v_fma_f64 v[104:105], v[149:150], v[108:109], -v[173:174]
	v_fma_f64 v[106:107], v[151:152], v[108:109], v[110:111]
	v_fma_f64 v[108:109], v[157:158], v[112:113], -v[175:176]
	v_fma_f64 v[110:111], v[159:160], v[112:113], v[114:115]
	v_fma_f64 v[112:113], v[153:154], v[116:117], -v[177:178]
	v_fma_f64 v[114:115], v[155:156], v[116:117], v[118:119]
	v_fma_f64 v[116:117], v[161:162], v[120:121], -v[179:180]
	v_fma_f64 v[118:119], v[163:164], v[120:121], v[122:123]
	v_fma_f64 v[120:121], v[165:166], v[124:125], -v[181:182]
	v_fma_f64 v[122:123], v[167:168], v[124:125], v[126:127]
	v_fma_f64 v[124:125], v[169:170], v[128:129], -v[183:184]
	v_fma_f64 v[126:127], v[171:172], v[128:129], v[130:131]
	ds_write_b128 v137, v[145:148]
	ds_write_b128 v137, v[104:107] offset:192
	ds_write_b128 v137, v[108:111] offset:384
	;; [unrolled: 1-line block ×6, first 2 shown]
	s_waitcnt lgkmcnt(0)
	s_barrier
	ds_read_b128 v[104:107], v137
	ds_read_b128 v[108:111], v137 offset:192
	ds_read_b128 v[112:115], v137 offset:960
	;; [unrolled: 1-line block ×6, first 2 shown]
	s_waitcnt lgkmcnt(0)
	s_barrier
	v_add_f64 v[133:134], v[108:109], v[116:117]
	v_add_f64 v[145:146], v[110:111], v[118:119]
	v_add_f64 v[108:109], v[108:109], -v[116:117]
	v_add_f64 v[110:111], v[110:111], -v[118:119]
	v_add_f64 v[116:117], v[124:125], v[112:113]
	v_add_f64 v[118:119], v[126:127], v[114:115]
	v_add_f64 v[112:113], v[124:125], -v[112:113]
	v_add_f64 v[114:115], v[126:127], -v[114:115]
	;; [unrolled: 4-line block ×4, first 2 shown]
	v_add_f64 v[133:134], v[133:134], -v[124:125]
	v_add_f64 v[145:146], v[145:146], -v[126:127]
	;; [unrolled: 1-line block ×4, first 2 shown]
	v_add_f64 v[151:152], v[120:121], v[112:113]
	v_add_f64 v[153:154], v[122:123], v[114:115]
	v_add_f64 v[155:156], v[120:121], -v[112:113]
	v_add_f64 v[157:158], v[122:123], -v[114:115]
	v_add_f64 v[124:125], v[124:125], v[128:129]
	v_add_f64 v[126:127], v[126:127], v[130:131]
	v_add_f64 v[112:113], v[112:113], -v[108:109]
	v_add_f64 v[114:115], v[114:115], -v[110:111]
	;; [unrolled: 1-line block ×4, first 2 shown]
	v_add_f64 v[128:129], v[151:152], v[108:109]
	v_add_f64 v[130:131], v[153:154], v[110:111]
	v_mul_f64 v[133:134], v[133:134], s[6:7]
	v_mul_f64 v[145:146], v[145:146], s[6:7]
	;; [unrolled: 1-line block ×6, first 2 shown]
	v_add_f64 v[108:109], v[104:105], v[124:125]
	v_add_f64 v[110:111], v[106:107], v[126:127]
	v_mul_f64 v[159:160], v[112:113], s[12:13]
	v_mul_f64 v[161:162], v[114:115], s[12:13]
	v_fma_f64 v[104:105], v[116:117], s[2:3], v[133:134]
	v_fma_f64 v[106:107], v[118:119], s[2:3], v[145:146]
	v_fma_f64 v[116:117], v[147:148], s[18:19], -v[151:152]
	v_fma_f64 v[118:119], v[149:150], s[18:19], -v[153:154]
	s_mov_b32 s19, 0xbfe77f67
	v_fma_f64 v[151:152], v[120:121], s[20:21], v[155:156]
	v_fma_f64 v[153:154], v[122:123], s[20:21], v[157:158]
	;; [unrolled: 1-line block ×4, first 2 shown]
	s_mov_b32 s21, 0x3fd5d0dc
	v_fma_f64 v[133:134], v[147:148], s[18:19], -v[133:134]
	v_fma_f64 v[145:146], v[149:150], s[18:19], -v[145:146]
	;; [unrolled: 1-line block ×6, first 2 shown]
	v_add_f64 v[104:105], v[104:105], v[124:125]
	v_add_f64 v[106:107], v[106:107], v[126:127]
	v_fma_f64 v[149:150], v[128:129], s[22:23], v[151:152]
	v_fma_f64 v[151:152], v[130:131], s[22:23], v[153:154]
	v_add_f64 v[133:134], v[133:134], v[124:125]
	v_add_f64 v[145:146], v[145:146], v[126:127]
	v_fma_f64 v[155:156], v[130:131], s[22:23], v[122:123]
	v_fma_f64 v[157:158], v[128:129], s[22:23], v[120:121]
	v_add_f64 v[147:148], v[116:117], v[124:125]
	v_fma_f64 v[153:154], v[128:129], s[22:23], v[112:113]
	v_fma_f64 v[124:125], v[130:131], s[22:23], v[114:115]
	v_add_f64 v[126:127], v[118:119], v[126:127]
	v_add_f64 v[112:113], v[104:105], v[151:152]
	v_add_f64 v[114:115], v[106:107], -v[149:150]
	v_add_f64 v[116:117], v[133:134], v[155:156]
	v_add_f64 v[118:119], v[145:146], -v[157:158]
	v_add_f64 v[128:129], v[133:134], -v[155:156]
	v_add_f64 v[130:131], v[157:158], v[145:146]
	v_add_f64 v[120:121], v[147:148], -v[124:125]
	v_add_f64 v[122:123], v[153:154], v[126:127]
	v_add_f64 v[124:125], v[147:148], v[124:125]
	v_add_f64 v[126:127], v[126:127], -v[153:154]
	v_add_f64 v[104:105], v[104:105], -v[151:152]
	v_add_f64 v[106:107], v[149:150], v[106:107]
	ds_write_b128 v139, v[108:111]
	ds_write_b128 v139, v[112:115] offset:16
	ds_write_b128 v139, v[116:119] offset:32
	;; [unrolled: 1-line block ×6, first 2 shown]
	s_waitcnt lgkmcnt(0)
	s_barrier
	ds_read_b128 v[108:111], v137
	ds_read_b128 v[112:115], v137 offset:192
	ds_read_b128 v[120:123], v137 offset:672
	;; [unrolled: 1-line block ×5, first 2 shown]
	s_and_saveexec_b64 s[2:3], s[0:1]
	s_cbranch_execz .LBB0_11
; %bb.10:
	ds_read_b128 v[104:107], v141 offset:576
	ds_read_b128 v[100:103], v137 offset:1248
.LBB0_11:
	s_or_b64 exec, exec, s[2:3]
	s_waitcnt lgkmcnt(3)
	v_mul_f64 v[133:134], v[46:47], v[122:123]
	v_mul_f64 v[46:47], v[46:47], v[120:121]
	s_waitcnt lgkmcnt(1)
	v_mul_f64 v[145:146], v[42:43], v[130:131]
	v_mul_f64 v[42:43], v[42:43], v[128:129]
	;; [unrolled: 3-line block ×3, first 2 shown]
	v_mul_f64 v[149:150], v[62:63], v[102:103]
	v_mul_f64 v[62:63], v[62:63], v[100:101]
	v_fma_f64 v[120:121], v[44:45], v[120:121], v[133:134]
	v_fma_f64 v[44:45], v[44:45], v[122:123], -v[46:47]
	v_fma_f64 v[46:47], v[40:41], v[128:129], v[145:146]
	v_fma_f64 v[40:41], v[40:41], v[130:131], -v[42:43]
	v_fma_f64 v[42:43], v[56:57], v[124:125], v[147:148]
	v_fma_f64 v[122:123], v[56:57], v[126:127], -v[58:59]
	v_fma_f64 v[124:125], v[60:61], v[100:101], v[149:150]
	v_fma_f64 v[126:127], v[60:61], v[102:103], -v[62:63]
	v_add_f64 v[56:57], v[108:109], -v[120:121]
	v_add_f64 v[58:59], v[110:111], -v[44:45]
	;; [unrolled: 1-line block ×8, first 2 shown]
	v_fma_f64 v[108:109], v[108:109], 2.0, -v[56:57]
	v_fma_f64 v[110:111], v[110:111], 2.0, -v[58:59]
	;; [unrolled: 1-line block ×8, first 2 shown]
	s_barrier
	ds_write_b128 v142, v[108:111]
	ds_write_b128 v142, v[56:59] offset:112
	ds_write_b128 v143, v[112:115]
	ds_write_b128 v143, v[60:63] offset:112
	;; [unrolled: 2-line block ×3, first 2 shown]
	s_and_saveexec_b64 s[2:3], s[0:1]
	s_cbranch_execz .LBB0_13
; %bb.12:
	v_and_b32_e32 v56, 0xff, v140
	v_lshl_add_u32 v56, v56, 4, v138
	ds_write_b128 v56, v[40:43] offset:1120
	ds_write_b128 v56, v[44:47] offset:1232
.LBB0_13:
	s_or_b64 exec, exec, s[2:3]
	s_waitcnt lgkmcnt(0)
	s_barrier
	ds_read_b128 v[56:59], v137
	ds_read_b128 v[60:63], v137 offset:224
	ds_read_b128 v[108:111], v137 offset:448
	;; [unrolled: 1-line block ×5, first 2 shown]
	s_and_saveexec_b64 s[0:1], vcc
	s_cbranch_execz .LBB0_15
; %bb.14:
	ds_read_b128 v[40:43], v137 offset:192
	ds_read_b128 v[44:47], v137 offset:416
	;; [unrolled: 1-line block ×6, first 2 shown]
.LBB0_15:
	s_or_b64 exec, exec, s[0:1]
	s_waitcnt lgkmcnt(3)
	v_mul_f64 v[116:117], v[82:83], v[110:111]
	s_waitcnt lgkmcnt(1)
	v_mul_f64 v[118:119], v[78:79], v[114:115]
	v_mul_f64 v[82:83], v[82:83], v[108:109]
	;; [unrolled: 1-line block ×4, first 2 shown]
	s_waitcnt lgkmcnt(0)
	v_mul_f64 v[122:123], v[74:75], v[104:105]
	v_mul_f64 v[70:71], v[70:71], v[102:103]
	;; [unrolled: 1-line block ×3, first 2 shown]
	v_fma_f64 v[108:109], v[80:81], v[108:109], v[116:117]
	v_fma_f64 v[112:113], v[76:77], v[112:113], v[118:119]
	v_mul_f64 v[116:117], v[66:67], v[60:61]
	v_fma_f64 v[80:81], v[80:81], v[110:111], -v[82:83]
	v_fma_f64 v[82:83], v[68:69], v[102:103], -v[120:121]
	v_fma_f64 v[76:77], v[76:77], v[114:115], -v[78:79]
	v_fma_f64 v[78:79], v[72:73], v[106:107], -v[122:123]
	v_mul_f64 v[66:67], v[66:67], v[62:63]
	v_fma_f64 v[68:69], v[68:69], v[100:101], v[70:71]
	v_add_f64 v[102:103], v[108:109], v[112:113]
	v_fma_f64 v[62:63], v[64:65], v[62:63], -v[116:117]
	v_fma_f64 v[70:71], v[72:73], v[104:105], v[74:75]
	v_add_f64 v[72:73], v[56:57], v[108:109]
	v_add_f64 v[74:75], v[80:81], -v[76:77]
	v_add_f64 v[100:101], v[82:83], v[78:79]
	v_fma_f64 v[60:61], v[64:65], v[60:61], v[66:67]
	s_mov_b32 s0, 0xe8584caa
	v_fma_f64 v[56:57], v[102:103], -0.5, v[56:57]
	s_mov_b32 s1, 0xbfebb67a
	v_add_f64 v[64:65], v[68:69], v[70:71]
	v_add_f64 v[66:67], v[68:69], -v[70:71]
	s_mov_b32 s3, 0x3febb67a
	v_fma_f64 v[100:101], v[100:101], -0.5, v[62:63]
	s_mov_b32 s2, s0
	v_add_f64 v[104:105], v[58:59], v[80:81]
	v_fma_f64 v[102:103], v[74:75], s[0:1], v[56:57]
	v_add_f64 v[80:81], v[80:81], v[76:77]
	v_fma_f64 v[64:65], v[64:65], -0.5, v[60:61]
	v_add_f64 v[106:107], v[82:83], -v[78:79]
	v_fma_f64 v[74:75], v[74:75], s[2:3], v[56:57]
	v_fma_f64 v[56:57], v[66:67], s[2:3], v[100:101]
	;; [unrolled: 1-line block ×3, first 2 shown]
	v_add_f64 v[60:61], v[60:61], v[68:69]
	v_add_f64 v[62:63], v[62:63], v[82:83]
	;; [unrolled: 1-line block ×3, first 2 shown]
	v_fma_f64 v[58:59], v[80:81], -0.5, v[58:59]
	v_add_f64 v[76:77], v[108:109], -v[112:113]
	v_fma_f64 v[68:69], v[106:107], s[0:1], v[64:65]
	v_fma_f64 v[64:65], v[106:107], s[2:3], v[64:65]
	v_mul_f64 v[80:81], v[56:57], s[0:1]
	v_mul_f64 v[104:105], v[66:67], s[0:1]
	v_mul_f64 v[56:57], v[56:57], 0.5
	v_mul_f64 v[66:67], v[66:67], -0.5
	v_add_f64 v[72:73], v[72:73], v[112:113]
	v_add_f64 v[70:71], v[60:61], v[70:71]
	;; [unrolled: 1-line block ×3, first 2 shown]
	v_fma_f64 v[82:83], v[76:77], s[2:3], v[58:59]
	v_fma_f64 v[106:107], v[76:77], s[0:1], v[58:59]
	v_fma_f64 v[76:77], v[68:69], 0.5, v[80:81]
	v_fma_f64 v[80:81], v[64:65], -0.5, v[104:105]
	v_fma_f64 v[104:105], v[68:69], s[2:3], v[56:57]
	v_fma_f64 v[108:109], v[64:65], s[2:3], v[66:67]
	v_add_f64 v[56:57], v[72:73], v[70:71]
	v_add_f64 v[58:59], v[100:101], v[78:79]
	v_add_f64 v[68:69], v[72:73], -v[70:71]
	v_add_f64 v[70:71], v[100:101], -v[78:79]
	v_add_f64 v[60:61], v[102:103], v[76:77]
	v_add_f64 v[64:65], v[74:75], v[80:81]
	v_add_f64 v[62:63], v[82:83], v[104:105]
	v_add_f64 v[66:67], v[106:107], v[108:109]
	v_add_f64 v[72:73], v[102:103], -v[76:77]
	v_add_f64 v[76:77], v[74:75], -v[80:81]
	;; [unrolled: 1-line block ×4, first 2 shown]
	ds_write_b128 v137, v[56:59]
	ds_write_b128 v141, v[60:63] offset:224
	ds_write_b128 v141, v[64:67] offset:448
	;; [unrolled: 1-line block ×5, first 2 shown]
	s_and_saveexec_b64 s[6:7], vcc
	s_cbranch_execz .LBB0_17
; %bb.16:
	v_mul_f64 v[58:59], v[30:31], v[88:89]
	v_mul_f64 v[60:61], v[50:51], v[96:97]
	;; [unrolled: 1-line block ×8, first 2 shown]
	v_fma_f64 v[58:59], v[28:29], v[90:91], -v[58:59]
	v_fma_f64 v[60:61], v[48:49], v[98:99], -v[60:61]
	;; [unrolled: 1-line block ×3, first 2 shown]
	v_mul_f64 v[34:35], v[34:35], v[94:95]
	v_fma_f64 v[36:37], v[36:37], v[84:85], v[38:39]
	v_mul_f64 v[38:39], v[54:55], v[46:47]
	v_fma_f64 v[28:29], v[28:29], v[88:89], v[30:31]
	v_fma_f64 v[30:31], v[48:49], v[96:97], v[50:51]
	v_fma_f64 v[46:47], v[52:53], v[46:47], -v[64:65]
	v_add_f64 v[48:49], v[58:59], v[60:61]
	v_fma_f64 v[62:63], v[32:33], v[94:95], -v[62:63]
	v_fma_f64 v[32:33], v[32:33], v[92:93], v[34:35]
	v_add_f64 v[54:55], v[58:59], -v[60:61]
	v_fma_f64 v[34:35], v[52:53], v[44:45], v[38:39]
	v_add_f64 v[64:65], v[42:43], v[56:57]
	v_add_f64 v[44:45], v[28:29], v[30:31]
	v_add_f64 v[50:51], v[28:29], -v[30:31]
	v_fma_f64 v[48:49], v[48:49], -0.5, v[46:47]
	v_add_f64 v[38:39], v[56:57], v[62:63]
	v_add_f64 v[46:47], v[46:47], v[58:59]
	;; [unrolled: 1-line block ×3, first 2 shown]
	v_add_f64 v[52:53], v[36:37], -v[32:33]
	v_add_f64 v[28:29], v[34:35], v[28:29]
	v_fma_f64 v[44:45], v[44:45], -0.5, v[34:35]
	v_add_f64 v[36:37], v[40:41], v[36:37]
	v_fma_f64 v[66:67], v[50:51], s[0:1], v[48:49]
	v_fma_f64 v[48:49], v[50:51], s[2:3], v[48:49]
	v_fma_f64 v[34:35], v[38:39], -0.5, v[42:43]
	v_add_f64 v[56:57], v[56:57], -v[62:63]
	v_fma_f64 v[40:41], v[58:59], -0.5, v[40:41]
	v_add_f64 v[60:61], v[46:47], v[60:61]
	v_fma_f64 v[38:39], v[54:55], s[2:3], v[44:45]
	v_fma_f64 v[42:43], v[54:55], s[0:1], v[44:45]
	v_mul_f64 v[44:45], v[66:67], -0.5
	v_mul_f64 v[54:55], v[48:49], 0.5
	v_mul_f64 v[48:49], v[48:49], s[0:1]
	v_fma_f64 v[46:47], v[52:53], s[0:1], v[34:35]
	v_fma_f64 v[52:53], v[52:53], s[2:3], v[34:35]
	v_mul_f64 v[34:35], v[66:67], s[0:1]
	v_add_f64 v[50:51], v[64:65], v[62:63]
	v_add_f64 v[32:33], v[36:37], v[32:33]
	;; [unrolled: 1-line block ×3, first 2 shown]
	v_fma_f64 v[44:45], v[38:39], s[2:3], v[44:45]
	v_fma_f64 v[54:55], v[42:43], s[2:3], v[54:55]
	;; [unrolled: 1-line block ×4, first 2 shown]
	v_fma_f64 v[64:65], v[42:43], 0.5, v[48:49]
	v_fma_f64 v[62:63], v[38:39], -0.5, v[34:35]
	v_add_f64 v[38:39], v[50:51], -v[60:61]
	v_add_f64 v[50:51], v[50:51], v[60:61]
	v_add_f64 v[48:49], v[32:33], v[28:29]
	v_add_f64 v[30:31], v[46:47], -v[44:45]
	v_add_f64 v[42:43], v[46:47], v[44:45]
	v_add_f64 v[46:47], v[52:53], v[54:55]
	;; [unrolled: 1-line block ×4, first 2 shown]
	v_add_f64 v[36:37], v[32:33], -v[28:29]
	v_add_f64 v[34:35], v[52:53], -v[54:55]
	;; [unrolled: 1-line block ×4, first 2 shown]
	ds_write_b128 v137, v[48:51] offset:192
	ds_write_b128 v141, v[44:47] offset:416
	ds_write_b128 v141, v[40:43] offset:640
	ds_write_b128 v141, v[36:39] offset:864
	ds_write_b128 v141, v[32:35] offset:1088
	ds_write_b128 v141, v[28:31] offset:1312
.LBB0_17:
	s_or_b64 exec, exec, s[6:7]
	s_waitcnt lgkmcnt(0)
	s_barrier
	ds_read_b128 v[28:31], v137
	ds_read_b128 v[32:35], v137 offset:192
	v_mad_u64_u32 v[36:37], s[0:1], s10, v132, 0
	s_mul_i32 s2, s9, 0xc0
	s_waitcnt lgkmcnt(1)
	v_mul_f64 v[38:39], v[26:27], v[30:31]
	v_mul_f64 v[26:27], v[26:27], v[28:29]
	s_mul_hi_u32 s3, s8, 0xc0
	v_mad_u64_u32 v[40:41], s[0:1], s11, v132, v[37:38]
	v_mad_u64_u32 v[41:42], s[0:1], s8, v136, 0
	v_fma_f64 v[28:29], v[24:25], v[28:29], v[38:39]
	v_fma_f64 v[26:27], v[24:25], v[30:31], -v[26:27]
	v_mov_b32_e32 v24, v42
	v_mad_u64_u32 v[30:31], s[0:1], s9, v136, v[24:25]
	s_mov_b32 s0, 0x18618618
	s_mov_b32 s1, 0x3f886186
	v_mov_b32_e32 v42, v30
	s_waitcnt lgkmcnt(0)
	v_mul_f64 v[30:31], v[10:11], v[34:35]
	v_mul_f64 v[10:11], v[10:11], v[32:33]
	v_mov_b32_e32 v37, v40
	v_mul_f64 v[24:25], v[28:29], s[0:1]
	v_mul_f64 v[26:27], v[26:27], s[0:1]
	v_lshlrev_b64 v[28:29], 4, v[36:37]
	v_mov_b32_e32 v36, s5
	v_add_co_u32_e32 v40, vcc, s4, v28
	v_fma_f64 v[30:31], v[8:9], v[32:33], v[30:31]
	v_fma_f64 v[32:33], v[8:9], v[34:35], -v[10:11]
	ds_read_b128 v[8:11], v137 offset:384
	v_addc_co_u32_e32 v43, vcc, v36, v29, vcc
	v_lshlrev_b64 v[28:29], 4, v[41:42]
	s_add_i32 s4, s3, s2
	v_add_co_u32_e32 v36, vcc, v40, v28
	v_addc_co_u32_e32 v37, vcc, v43, v29, vcc
	global_store_dwordx4 v[36:37], v[24:27], off
	s_mul_i32 s5, s8, 0xc0
	v_mul_f64 v[24:25], v[30:31], s[0:1]
	ds_read_b128 v[28:31], v137 offset:768
	s_waitcnt lgkmcnt(1)
	v_mul_f64 v[38:39], v[22:23], v[10:11]
	v_mul_f64 v[22:23], v[22:23], v[8:9]
	;; [unrolled: 1-line block ×3, first 2 shown]
	ds_read_b128 v[32:35], v141 offset:576
	v_mov_b32_e32 v41, s4
	v_fma_f64 v[8:9], v[20:21], v[8:9], v[38:39]
	v_fma_f64 v[10:11], v[20:21], v[10:11], -v[22:23]
	s_waitcnt lgkmcnt(0)
	v_mul_f64 v[20:21], v[14:15], v[34:35]
	v_mul_f64 v[14:15], v[14:15], v[32:33]
	v_add_co_u32_e32 v22, vcc, s5, v36
	v_addc_co_u32_e32 v23, vcc, v37, v41, vcc
	v_mul_f64 v[8:9], v[8:9], s[0:1]
	v_mul_f64 v[10:11], v[10:11], s[0:1]
	v_fma_f64 v[20:21], v[12:13], v[32:33], v[20:21]
	v_fma_f64 v[12:13], v[12:13], v[34:35], -v[14:15]
	v_mov_b32_e32 v15, s4
	v_add_co_u32_e32 v14, vcc, s5, v22
	v_addc_co_u32_e32 v15, vcc, v23, v15, vcc
	global_store_dwordx4 v[22:23], v[24:27], off
	global_store_dwordx4 v[14:15], v[8:11], off
	v_mad_u64_u32 v[22:23], s[2:3], s8, v135, 0
	v_mul_f64 v[10:11], v[12:13], s[0:1]
	v_mul_f64 v[12:13], v[18:19], v[30:31]
	;; [unrolled: 1-line block ×4, first 2 shown]
	v_mov_b32_e32 v21, s4
	v_add_co_u32_e32 v20, vcc, s5, v14
	v_addc_co_u32_e32 v21, vcc, v15, v21, vcc
	v_fma_f64 v[24:25], v[16:17], v[28:29], v[12:13]
	global_store_dwordx4 v[20:21], v[8:11], off
	ds_read_b128 v[8:11], v137 offset:960
	ds_read_b128 v[12:15], v137 offset:1152
	v_fma_f64 v[18:19], v[16:17], v[30:31], -v[18:19]
	v_mov_b32_e32 v16, v23
	v_mad_u64_u32 v[28:29], s[2:3], s9, v135, v[16:17]
	s_waitcnt lgkmcnt(1)
	v_mul_f64 v[26:27], v[2:3], v[10:11]
	v_mul_f64 v[2:3], v[2:3], v[8:9]
	;; [unrolled: 1-line block ×3, first 2 shown]
	s_waitcnt lgkmcnt(0)
	v_mul_f64 v[24:25], v[6:7], v[14:15]
	v_mul_f64 v[6:7], v[6:7], v[12:13]
	;; [unrolled: 1-line block ×3, first 2 shown]
	v_mov_b32_e32 v23, v28
	v_lshlrev_b64 v[22:23], 4, v[22:23]
	v_fma_f64 v[8:9], v[0:1], v[8:9], v[26:27]
	v_fma_f64 v[2:3], v[0:1], v[10:11], -v[2:3]
	v_add_co_u32_e32 v0, vcc, v40, v22
	v_fma_f64 v[10:11], v[4:5], v[12:13], v[24:25]
	v_fma_f64 v[6:7], v[4:5], v[14:15], -v[6:7]
	v_addc_co_u32_e32 v1, vcc, v43, v23, vcc
	global_store_dwordx4 v[0:1], v[16:19], off
	v_mul_f64 v[0:1], v[8:9], s[0:1]
	v_mul_f64 v[2:3], v[2:3], s[0:1]
	v_mov_b32_e32 v4, 0x180
	v_mad_u64_u32 v[8:9], s[2:3], s8, v4, v[20:21]
	v_mul_f64 v[4:5], v[10:11], s[0:1]
	v_mul_f64 v[6:7], v[6:7], s[0:1]
	s_mul_i32 s2, s9, 0x180
	v_add_u32_e32 v9, s2, v9
	global_store_dwordx4 v[8:9], v[0:3], off
	s_nop 0
	v_mov_b32_e32 v1, s4
	v_add_co_u32_e32 v0, vcc, s5, v8
	v_addc_co_u32_e32 v1, vcc, v9, v1, vcc
	global_store_dwordx4 v[0:1], v[4:7], off
.LBB0_18:
	s_endpgm
	.section	.rodata,"a",@progbits
	.p2align	6, 0x0
	.amdhsa_kernel bluestein_single_back_len84_dim1_dp_op_CI_CI
		.amdhsa_group_segment_fixed_size 13440
		.amdhsa_private_segment_fixed_size 0
		.amdhsa_kernarg_size 104
		.amdhsa_user_sgpr_count 6
		.amdhsa_user_sgpr_private_segment_buffer 1
		.amdhsa_user_sgpr_dispatch_ptr 0
		.amdhsa_user_sgpr_queue_ptr 0
		.amdhsa_user_sgpr_kernarg_segment_ptr 1
		.amdhsa_user_sgpr_dispatch_id 0
		.amdhsa_user_sgpr_flat_scratch_init 0
		.amdhsa_user_sgpr_private_segment_size 0
		.amdhsa_uses_dynamic_stack 0
		.amdhsa_system_sgpr_private_segment_wavefront_offset 0
		.amdhsa_system_sgpr_workgroup_id_x 1
		.amdhsa_system_sgpr_workgroup_id_y 0
		.amdhsa_system_sgpr_workgroup_id_z 0
		.amdhsa_system_sgpr_workgroup_info 0
		.amdhsa_system_vgpr_workitem_id 0
		.amdhsa_next_free_vgpr 185
		.amdhsa_next_free_sgpr 24
		.amdhsa_reserve_vcc 1
		.amdhsa_reserve_flat_scratch 0
		.amdhsa_float_round_mode_32 0
		.amdhsa_float_round_mode_16_64 0
		.amdhsa_float_denorm_mode_32 3
		.amdhsa_float_denorm_mode_16_64 3
		.amdhsa_dx10_clamp 1
		.amdhsa_ieee_mode 1
		.amdhsa_fp16_overflow 0
		.amdhsa_exception_fp_ieee_invalid_op 0
		.amdhsa_exception_fp_denorm_src 0
		.amdhsa_exception_fp_ieee_div_zero 0
		.amdhsa_exception_fp_ieee_overflow 0
		.amdhsa_exception_fp_ieee_underflow 0
		.amdhsa_exception_fp_ieee_inexact 0
		.amdhsa_exception_int_div_zero 0
	.end_amdhsa_kernel
	.text
.Lfunc_end0:
	.size	bluestein_single_back_len84_dim1_dp_op_CI_CI, .Lfunc_end0-bluestein_single_back_len84_dim1_dp_op_CI_CI
                                        ; -- End function
	.section	.AMDGPU.csdata,"",@progbits
; Kernel info:
; codeLenInByte = 7936
; NumSgprs: 28
; NumVgprs: 185
; ScratchSize: 0
; MemoryBound: 0
; FloatMode: 240
; IeeeMode: 1
; LDSByteSize: 13440 bytes/workgroup (compile time only)
; SGPRBlocks: 3
; VGPRBlocks: 46
; NumSGPRsForWavesPerEU: 28
; NumVGPRsForWavesPerEU: 185
; Occupancy: 1
; WaveLimiterHint : 1
; COMPUTE_PGM_RSRC2:SCRATCH_EN: 0
; COMPUTE_PGM_RSRC2:USER_SGPR: 6
; COMPUTE_PGM_RSRC2:TRAP_HANDLER: 0
; COMPUTE_PGM_RSRC2:TGID_X_EN: 1
; COMPUTE_PGM_RSRC2:TGID_Y_EN: 0
; COMPUTE_PGM_RSRC2:TGID_Z_EN: 0
; COMPUTE_PGM_RSRC2:TIDIG_COMP_CNT: 0
	.type	__hip_cuid_fb924791ed5a845d,@object ; @__hip_cuid_fb924791ed5a845d
	.section	.bss,"aw",@nobits
	.globl	__hip_cuid_fb924791ed5a845d
__hip_cuid_fb924791ed5a845d:
	.byte	0                               ; 0x0
	.size	__hip_cuid_fb924791ed5a845d, 1

	.ident	"AMD clang version 19.0.0git (https://github.com/RadeonOpenCompute/llvm-project roc-6.4.0 25133 c7fe45cf4b819c5991fe208aaa96edf142730f1d)"
	.section	".note.GNU-stack","",@progbits
	.addrsig
	.addrsig_sym __hip_cuid_fb924791ed5a845d
	.amdgpu_metadata
---
amdhsa.kernels:
  - .args:
      - .actual_access:  read_only
        .address_space:  global
        .offset:         0
        .size:           8
        .value_kind:     global_buffer
      - .actual_access:  read_only
        .address_space:  global
        .offset:         8
        .size:           8
        .value_kind:     global_buffer
      - .actual_access:  read_only
        .address_space:  global
        .offset:         16
        .size:           8
        .value_kind:     global_buffer
      - .actual_access:  read_only
        .address_space:  global
        .offset:         24
        .size:           8
        .value_kind:     global_buffer
      - .actual_access:  read_only
        .address_space:  global
        .offset:         32
        .size:           8
        .value_kind:     global_buffer
      - .offset:         40
        .size:           8
        .value_kind:     by_value
      - .address_space:  global
        .offset:         48
        .size:           8
        .value_kind:     global_buffer
      - .address_space:  global
        .offset:         56
        .size:           8
        .value_kind:     global_buffer
      - .address_space:  global
        .offset:         64
        .size:           8
        .value_kind:     global_buffer
      - .address_space:  global
        .offset:         72
        .size:           8
        .value_kind:     global_buffer
      - .offset:         80
        .size:           4
        .value_kind:     by_value
      - .address_space:  global
        .offset:         88
        .size:           8
        .value_kind:     global_buffer
      - .address_space:  global
        .offset:         96
        .size:           8
        .value_kind:     global_buffer
    .group_segment_fixed_size: 13440
    .kernarg_segment_align: 8
    .kernarg_segment_size: 104
    .language:       OpenCL C
    .language_version:
      - 2
      - 0
    .max_flat_workgroup_size: 120
    .name:           bluestein_single_back_len84_dim1_dp_op_CI_CI
    .private_segment_fixed_size: 0
    .sgpr_count:     28
    .sgpr_spill_count: 0
    .symbol:         bluestein_single_back_len84_dim1_dp_op_CI_CI.kd
    .uniform_work_group_size: 1
    .uses_dynamic_stack: false
    .vgpr_count:     185
    .vgpr_spill_count: 0
    .wavefront_size: 64
amdhsa.target:   amdgcn-amd-amdhsa--gfx906
amdhsa.version:
  - 1
  - 2
...

	.end_amdgpu_metadata
